;; amdgpu-corpus repo=llvm/llvm-project kind=harvested arch=n/a opt=n/a
// NOTE: Assertions have been autogenerated by utils/update_mc_test_checks.py UTC_ARGS: --unique --sort --version 6
// RUN: not llvm-mc -triple=amdgcn -mcpu=gfx900 %s -filetype=null 2>&1 | FileCheck -check-prefix=GFX9ERR --implicit-check-not=error: %s

global_load_dword v[2:3], off
// GFX9ERR: :[[@LINE-1]]:1: error: too few operands for instruction

global_load_lds_dword v[2:3], off
// GFX9ERR: :[[@LINE-1]]:1: error: instruction not supported on this GPU (gfx900): global_load_lds_dword

s_sendmsg sendmsg(MSG_SYSMSG, SYSMSG_OP_HOST_TRAP_ACK)
// GFX9ERR: :[[@LINE-1]]:31: error: specified operation id is not supported on this GPU

scratch_load_dword v2, off, offset:256
// GFX9ERR: :[[@LINE-1]]:1: error: too few operands for instruction

v_add_u16_e64 v5, -3.8, v2
// GFX9ERR: :[[@LINE-1]]:19: error: literal operands are not supported

v_add_u16_e64 v5, 0.1, v2
// GFX9ERR: :[[@LINE-1]]:19: error: literal operands are not supported

v_add_u16_e64 v5, v1, -4.2
// GFX9ERR: :[[@LINE-1]]:23: error: literal operands are not supported

v_add_u16_e64 v5, v1, 0.4
// GFX9ERR: :[[@LINE-1]]:23: error: literal operands are not supported

v_cvt_f16_i16_e64 v5, -4.5
// GFX9ERR: :[[@LINE-1]]:23: error: literal operands are not supported

v_cvt_f16_i16_e64 v5, 0.3
// GFX9ERR: :[[@LINE-1]]:23: error: literal operands are not supported

v_cvt_f16_u16_e64 v5, -4.1
// GFX9ERR: :[[@LINE-1]]:23: error: literal operands are not supported

v_cvt_f16_u16_e64 v5, 0.6
// GFX9ERR: :[[@LINE-1]]:23: error: literal operands are not supported

v_cvt_u32_f64 v5, v[0:1] quad_perm:[0,2,1,1] row_mask:0xf bank_mask:0xf
// GFX9ERR: :[[@LINE-1]]:19: error: invalid operand for instruction

v_subrev_u16_e64 v5, v1, -4.2
// GFX9ERR: :[[@LINE-1]]:26: error: literal operands are not supported

v_subrev_u16_e64 v5, v1, 0.4
// GFX9ERR: :[[@LINE-1]]:26: error: literal operands are not supported
